;; amdgpu-corpus repo=ROCm/rocFFT kind=compiled arch=gfx1100 opt=O3
	.text
	.amdgcn_target "amdgcn-amd-amdhsa--gfx1100"
	.amdhsa_code_object_version 6
	.protected	fft_rtc_fwd_len216_factors_6_6_6_wgs_324_tpt_36_sp_op_CI_CI_sbcc_dirReg_intrinsicRead ; -- Begin function fft_rtc_fwd_len216_factors_6_6_6_wgs_324_tpt_36_sp_op_CI_CI_sbcc_dirReg_intrinsicRead
	.globl	fft_rtc_fwd_len216_factors_6_6_6_wgs_324_tpt_36_sp_op_CI_CI_sbcc_dirReg_intrinsicRead
	.p2align	8
	.type	fft_rtc_fwd_len216_factors_6_6_6_wgs_324_tpt_36_sp_op_CI_CI_sbcc_dirReg_intrinsicRead,@function
fft_rtc_fwd_len216_factors_6_6_6_wgs_324_tpt_36_sp_op_CI_CI_sbcc_dirReg_intrinsicRead: ; @fft_rtc_fwd_len216_factors_6_6_6_wgs_324_tpt_36_sp_op_CI_CI_sbcc_dirReg_intrinsicRead
; %bb.0:
	s_mov_b32 s26, s15
	s_clause 0x1
	s_load_b128 s[12:15], s[0:1], 0x18
	s_load_b64 s[24:25], s[0:1], 0x28
	s_mov_b32 s27, 0
	s_mov_b64 s[20:21], 0
	s_waitcnt lgkmcnt(0)
	s_load_b64 s[22:23], s[12:13], 0x8
	s_waitcnt lgkmcnt(0)
	s_add_u32 s2, s22, -1
	s_addc_u32 s3, s23, -1
	s_add_u32 s4, 0, 0x71c4fc00
	s_addc_u32 s5, 0, 0x7c
	s_mul_hi_u32 s7, s4, -9
	s_add_i32 s5, s5, 0x1c71c6a0
	s_sub_i32 s7, s7, s4
	s_mul_i32 s9, s5, -9
	s_mul_i32 s6, s4, -9
	s_add_i32 s7, s7, s9
	s_mul_hi_u32 s8, s4, s6
	s_mul_i32 s11, s4, s7
	s_mul_hi_u32 s9, s4, s7
	s_mul_hi_u32 s10, s5, s6
	s_mul_i32 s6, s5, s6
	s_add_u32 s8, s8, s11
	s_addc_u32 s9, 0, s9
	s_mul_hi_u32 s16, s5, s7
	s_add_u32 s6, s8, s6
	s_mul_i32 s7, s5, s7
	s_addc_u32 s6, s9, s10
	s_addc_u32 s8, s16, 0
	s_add_u32 s6, s6, s7
	s_delay_alu instid0(SALU_CYCLE_1) | instskip(SKIP_3) | instid1(VALU_DEP_1)
	v_add_co_u32 v1, s4, s4, s6
	s_addc_u32 s6, 0, s8
	s_cmp_lg_u32 s4, 0
	s_addc_u32 s4, s5, s6
	v_readfirstlane_b32 s5, v1
	s_mul_i32 s7, s2, s4
	s_mul_hi_u32 s6, s2, s4
	s_mul_hi_u32 s8, s3, s4
	s_mul_i32 s4, s3, s4
	s_mul_hi_u32 s9, s2, s5
	s_mul_hi_u32 s10, s3, s5
	s_mul_i32 s5, s3, s5
	s_add_u32 s7, s9, s7
	s_addc_u32 s6, 0, s6
	s_add_u32 s5, s7, s5
	s_addc_u32 s5, s6, s10
	s_addc_u32 s6, s8, 0
	s_add_u32 s4, s5, s4
	s_addc_u32 s5, 0, s6
	s_mul_i32 s7, s4, 9
	s_add_u32 s6, s4, 1
	v_sub_co_u32 v1, s2, s2, s7
	s_mul_hi_u32 s7, s4, 9
	s_addc_u32 s8, s5, 0
	s_mul_i32 s9, s5, 9
	s_delay_alu instid0(VALU_DEP_1)
	v_sub_co_u32 v2, s10, v1, 9
	s_add_u32 s11, s4, 2
	s_addc_u32 s16, s5, 0
	s_add_i32 s7, s7, s9
	s_cmp_lg_u32 s2, 0
	v_readfirstlane_b32 s2, v2
	s_subb_u32 s3, s3, s7
	s_cmp_lg_u32 s10, 0
	s_subb_u32 s7, s3, 0
	s_delay_alu instid0(VALU_DEP_1) | instskip(SKIP_4) | instid1(SALU_CYCLE_1)
	s_cmp_gt_u32 s2, 8
	s_cselect_b32 s2, -1, 0
	s_cmp_eq_u32 s7, 0
	v_readfirstlane_b32 s7, v1
	s_cselect_b32 s2, s2, -1
	s_cmp_lg_u32 s2, 0
	s_cselect_b32 s2, s11, s6
	s_cselect_b32 s6, s16, s8
	s_cmp_gt_u32 s7, 8
	s_cselect_b32 s7, -1, 0
	s_cmp_eq_u32 s3, 0
	s_cselect_b32 s3, s7, -1
	s_delay_alu instid0(SALU_CYCLE_1) | instskip(SKIP_4) | instid1(SALU_CYCLE_1)
	s_cmp_lg_u32 s3, 0
	s_cselect_b32 s2, s2, s4
	s_cselect_b32 s3, s6, s5
	s_add_u32 s28, s2, 1
	s_addc_u32 s29, s3, 0
	v_cmp_lt_u64_e64 s2, s[26:27], s[28:29]
	s_delay_alu instid0(VALU_DEP_1)
	s_and_b32 vcc_lo, exec_lo, s2
	s_cbranch_vccnz .LBB0_2
; %bb.1:
	v_cvt_f32_u32_e32 v1, s28
	s_sub_i32 s3, 0, s28
	s_mov_b32 s21, s27
	s_delay_alu instid0(VALU_DEP_1) | instskip(SKIP_2) | instid1(VALU_DEP_1)
	v_rcp_iflag_f32_e32 v1, v1
	s_waitcnt_depctr 0xfff
	v_mul_f32_e32 v1, 0x4f7ffffe, v1
	v_cvt_u32_f32_e32 v1, v1
	s_delay_alu instid0(VALU_DEP_1) | instskip(NEXT) | instid1(VALU_DEP_1)
	v_readfirstlane_b32 s2, v1
	s_mul_i32 s3, s3, s2
	s_delay_alu instid0(SALU_CYCLE_1) | instskip(NEXT) | instid1(SALU_CYCLE_1)
	s_mul_hi_u32 s3, s2, s3
	s_add_i32 s2, s2, s3
	s_delay_alu instid0(SALU_CYCLE_1) | instskip(NEXT) | instid1(SALU_CYCLE_1)
	s_mul_hi_u32 s2, s26, s2
	s_mul_i32 s3, s2, s28
	s_add_i32 s4, s2, 1
	s_sub_i32 s3, s26, s3
	s_delay_alu instid0(SALU_CYCLE_1)
	s_sub_i32 s5, s3, s28
	s_cmp_ge_u32 s3, s28
	s_cselect_b32 s2, s4, s2
	s_cselect_b32 s3, s5, s3
	s_add_i32 s4, s2, 1
	s_cmp_ge_u32 s3, s28
	s_cselect_b32 s20, s4, s2
.LBB0_2:
	s_load_b128 s[8:11], s[14:15], 0x0
	s_load_b128 s[4:7], s[24:25], 0x0
	s_clause 0x1
	s_load_b64 s[30:31], s[0:1], 0x10
	s_load_b64 s[18:19], s[0:1], 0x0
	s_mul_i32 s2, s20, s29
	s_mul_hi_u32 s3, s20, s28
	s_waitcnt lgkmcnt(0)
	s_mul_i32 s9, s20, s28
	s_add_i32 s3, s3, s2
	s_sub_u32 s33, s26, s9
	s_subb_u32 s2, 0, s3
	s_mul_hi_u32 s9, s33, 9
	s_mul_i32 s16, s2, 9
	s_load_b128 s[0:3], s[0:1], 0x60
	s_add_i32 s9, s9, s16
	s_mul_i32 s33, s33, 9
	s_mul_i32 s16, s10, s9
	s_mul_hi_u32 s17, s10, s33
	v_cmp_lt_u64_e64 s38, s[30:31], 3
	s_mul_i32 s35, s6, s9
	s_mul_hi_u32 s36, s6, s33
	s_mul_i32 s34, s11, s33
	s_mul_i32 s37, s7, s33
	s_add_i32 s16, s17, s16
	s_add_i32 s17, s36, s35
	;; [unrolled: 1-line block ×3, first 2 shown]
	s_mul_i32 s46, s10, s33
	s_add_i32 s17, s17, s37
	s_and_b32 vcc_lo, exec_lo, s38
	s_mul_i32 s16, s6, s33
	s_cbranch_vccnz .LBB0_12
; %bb.3:
	s_add_u32 s34, s24, 16
	s_addc_u32 s35, s25, 0
	s_add_u32 s36, s14, 16
	s_addc_u32 s37, s15, 0
	;; [unrolled: 2-line block ×3, first 2 shown]
	s_mov_b64 s[38:39], 2
	s_mov_b32 s40, 0
.LBB0_4:                                ; =>This Inner Loop Header: Depth=1
	s_load_b64 s[42:43], s[12:13], 0x0
	s_waitcnt lgkmcnt(0)
	s_or_b64 s[44:45], s[20:21], s[42:43]
	s_delay_alu instid0(SALU_CYCLE_1) | instskip(NEXT) | instid1(SALU_CYCLE_1)
	s_mov_b32 s41, s45
                                        ; implicit-def: $sgpr44_sgpr45
	s_cmp_lg_u64 s[40:41], 0
	s_mov_b32 s41, -1
	s_cbranch_scc0 .LBB0_6
; %bb.5:                                ;   in Loop: Header=BB0_4 Depth=1
	v_cvt_f32_u32_e32 v1, s42
	v_cvt_f32_u32_e32 v2, s43
	s_sub_u32 s45, 0, s42
	s_subb_u32 s48, 0, s43
	s_delay_alu instid0(VALU_DEP_1) | instskip(NEXT) | instid1(VALU_DEP_1)
	v_fmac_f32_e32 v1, 0x4f800000, v2
	v_rcp_f32_e32 v1, v1
	s_waitcnt_depctr 0xfff
	v_mul_f32_e32 v1, 0x5f7ffffc, v1
	s_delay_alu instid0(VALU_DEP_1) | instskip(NEXT) | instid1(VALU_DEP_1)
	v_mul_f32_e32 v2, 0x2f800000, v1
	v_trunc_f32_e32 v2, v2
	s_delay_alu instid0(VALU_DEP_1) | instskip(SKIP_1) | instid1(VALU_DEP_2)
	v_fmac_f32_e32 v1, 0xcf800000, v2
	v_cvt_u32_f32_e32 v2, v2
	v_cvt_u32_f32_e32 v1, v1
	s_delay_alu instid0(VALU_DEP_2) | instskip(NEXT) | instid1(VALU_DEP_2)
	v_readfirstlane_b32 s41, v2
	v_readfirstlane_b32 s44, v1
	s_delay_alu instid0(VALU_DEP_2) | instskip(NEXT) | instid1(VALU_DEP_1)
	s_mul_i32 s49, s45, s41
	s_mul_hi_u32 s51, s45, s44
	s_mul_i32 s50, s48, s44
	s_add_i32 s49, s51, s49
	s_mul_i32 s52, s45, s44
	s_add_i32 s49, s49, s50
	s_mul_hi_u32 s51, s44, s52
	s_mul_hi_u32 s53, s41, s52
	s_mul_i32 s50, s41, s52
	s_mul_hi_u32 s52, s44, s49
	s_mul_i32 s44, s44, s49
	s_mul_hi_u32 s54, s41, s49
	s_add_u32 s44, s51, s44
	s_addc_u32 s51, 0, s52
	s_add_u32 s44, s44, s50
	s_mul_i32 s49, s41, s49
	s_addc_u32 s44, s51, s53
	s_addc_u32 s50, s54, 0
	s_add_u32 s44, s44, s49
	s_addc_u32 s49, 0, s50
	v_add_co_u32 v1, s44, v1, s44
	s_delay_alu instid0(VALU_DEP_1) | instskip(SKIP_1) | instid1(VALU_DEP_1)
	s_cmp_lg_u32 s44, 0
	s_addc_u32 s41, s41, s49
	v_readfirstlane_b32 s44, v1
	s_mul_i32 s49, s45, s41
	s_delay_alu instid0(VALU_DEP_1)
	s_mul_hi_u32 s50, s45, s44
	s_mul_i32 s48, s48, s44
	s_add_i32 s49, s50, s49
	s_mul_i32 s45, s45, s44
	s_add_i32 s49, s49, s48
	s_mul_hi_u32 s50, s41, s45
	s_mul_i32 s51, s41, s45
	s_mul_hi_u32 s45, s44, s45
	s_mul_hi_u32 s52, s44, s49
	s_mul_i32 s44, s44, s49
	s_mul_hi_u32 s48, s41, s49
	s_add_u32 s44, s45, s44
	s_addc_u32 s45, 0, s52
	s_add_u32 s44, s44, s51
	s_mul_i32 s49, s41, s49
	s_addc_u32 s44, s45, s50
	s_addc_u32 s45, s48, 0
	s_add_u32 s44, s44, s49
	s_addc_u32 s45, 0, s45
	v_add_co_u32 v1, s44, v1, s44
	s_delay_alu instid0(VALU_DEP_1) | instskip(SKIP_1) | instid1(VALU_DEP_1)
	s_cmp_lg_u32 s44, 0
	s_addc_u32 s41, s41, s45
	v_readfirstlane_b32 s44, v1
	s_mul_i32 s48, s20, s41
	s_mul_hi_u32 s45, s20, s41
	s_mul_hi_u32 s49, s21, s41
	s_mul_i32 s41, s21, s41
	s_mul_hi_u32 s50, s20, s44
	s_mul_hi_u32 s51, s21, s44
	s_mul_i32 s44, s21, s44
	s_add_u32 s48, s50, s48
	s_addc_u32 s45, 0, s45
	s_add_u32 s44, s48, s44
	s_addc_u32 s44, s45, s51
	s_addc_u32 s45, s49, 0
	s_add_u32 s44, s44, s41
	s_addc_u32 s45, 0, s45
	s_mul_hi_u32 s41, s42, s44
	s_mul_i32 s49, s42, s45
	s_mul_i32 s50, s42, s44
	s_add_i32 s41, s41, s49
	v_sub_co_u32 v1, s49, s20, s50
	s_mul_i32 s48, s43, s44
	s_delay_alu instid0(SALU_CYCLE_1) | instskip(NEXT) | instid1(VALU_DEP_1)
	s_add_i32 s41, s41, s48
	v_sub_co_u32 v2, s50, v1, s42
	s_sub_i32 s48, s21, s41
	s_cmp_lg_u32 s49, 0
	s_subb_u32 s48, s48, s43
	s_cmp_lg_u32 s50, 0
	v_readfirstlane_b32 s50, v2
	s_subb_u32 s48, s48, 0
	s_delay_alu instid0(SALU_CYCLE_1) | instskip(SKIP_1) | instid1(VALU_DEP_1)
	s_cmp_ge_u32 s48, s43
	s_cselect_b32 s51, -1, 0
	s_cmp_ge_u32 s50, s42
	s_cselect_b32 s50, -1, 0
	s_cmp_eq_u32 s48, s43
	s_cselect_b32 s48, s50, s51
	s_add_u32 s50, s44, 1
	s_addc_u32 s51, s45, 0
	s_add_u32 s52, s44, 2
	s_addc_u32 s53, s45, 0
	s_cmp_lg_u32 s48, 0
	s_cselect_b32 s48, s52, s50
	s_cselect_b32 s50, s53, s51
	s_cmp_lg_u32 s49, 0
	v_readfirstlane_b32 s49, v1
	s_subb_u32 s41, s21, s41
	s_delay_alu instid0(SALU_CYCLE_1) | instskip(SKIP_1) | instid1(VALU_DEP_1)
	s_cmp_ge_u32 s41, s43
	s_cselect_b32 s51, -1, 0
	s_cmp_ge_u32 s49, s42
	s_cselect_b32 s49, -1, 0
	s_cmp_eq_u32 s41, s43
	s_cselect_b32 s41, s49, s51
	s_delay_alu instid0(SALU_CYCLE_1)
	s_cmp_lg_u32 s41, 0
	s_mov_b32 s41, 0
	s_cselect_b32 s45, s50, s45
	s_cselect_b32 s44, s48, s44
.LBB0_6:                                ;   in Loop: Header=BB0_4 Depth=1
	s_and_not1_b32 vcc_lo, exec_lo, s41
	s_cbranch_vccnz .LBB0_8
; %bb.7:                                ;   in Loop: Header=BB0_4 Depth=1
	v_cvt_f32_u32_e32 v1, s42
	s_sub_i32 s44, 0, s42
	s_waitcnt_depctr 0xfff
	v_rcp_iflag_f32_e32 v1, v1
	s_waitcnt_depctr 0xfff
	v_mul_f32_e32 v1, 0x4f7ffffe, v1
	s_delay_alu instid0(VALU_DEP_1) | instskip(NEXT) | instid1(VALU_DEP_1)
	v_cvt_u32_f32_e32 v1, v1
	v_readfirstlane_b32 s41, v1
	s_delay_alu instid0(VALU_DEP_1) | instskip(NEXT) | instid1(SALU_CYCLE_1)
	s_mul_i32 s44, s44, s41
	s_mul_hi_u32 s44, s41, s44
	s_delay_alu instid0(SALU_CYCLE_1) | instskip(NEXT) | instid1(SALU_CYCLE_1)
	s_add_i32 s41, s41, s44
	s_mul_hi_u32 s41, s20, s41
	s_delay_alu instid0(SALU_CYCLE_1) | instskip(SKIP_2) | instid1(SALU_CYCLE_1)
	s_mul_i32 s44, s41, s42
	s_add_i32 s45, s41, 1
	s_sub_i32 s44, s20, s44
	s_sub_i32 s48, s44, s42
	s_cmp_ge_u32 s44, s42
	s_cselect_b32 s41, s45, s41
	s_cselect_b32 s44, s48, s44
	s_add_i32 s45, s41, 1
	s_cmp_ge_u32 s44, s42
	s_cselect_b32 s44, s45, s41
	s_mov_b32 s45, s40
.LBB0_8:                                ;   in Loop: Header=BB0_4 Depth=1
	s_load_b64 s[48:49], s[36:37], 0x0
	s_load_b64 s[50:51], s[34:35], 0x0
	s_mul_i32 s29, s42, s29
	s_mul_hi_u32 s41, s42, s28
	s_mul_i32 s52, s43, s28
	s_mul_i32 s43, s44, s43
	s_mul_hi_u32 s53, s44, s42
	s_mul_i32 s54, s45, s42
	s_add_i32 s29, s41, s29
	s_add_i32 s41, s53, s43
	s_mul_i32 s55, s44, s42
	s_add_i32 s29, s29, s52
	s_add_i32 s41, s41, s54
	s_sub_u32 s20, s20, s55
	s_subb_u32 s21, s21, s41
	s_mul_i32 s28, s42, s28
	s_waitcnt lgkmcnt(0)
	s_mul_i32 s41, s48, s21
	s_mul_hi_u32 s43, s48, s20
	s_mul_i32 s49, s49, s20
	s_add_i32 s41, s43, s41
	s_mul_i32 s48, s48, s20
	s_mul_i32 s21, s50, s21
	s_mul_hi_u32 s43, s50, s20
	s_add_i32 s41, s41, s49
	s_add_u32 s46, s48, s46
	s_addc_u32 s47, s41, s47
	s_add_i32 s21, s43, s21
	s_mul_i32 s41, s51, s20
	s_mul_i32 s20, s50, s20
	s_add_i32 s21, s21, s41
	s_add_u32 s16, s20, s16
	s_addc_u32 s17, s21, s17
	s_add_u32 s38, s38, 1
	s_addc_u32 s39, s39, 0
	s_add_u32 s34, s34, 8
	v_cmp_ge_u64_e64 s20, s[38:39], s[30:31]
	s_addc_u32 s35, s35, 0
	s_add_u32 s36, s36, 8
	s_addc_u32 s37, s37, 0
	s_add_u32 s12, s12, 8
	s_addc_u32 s13, s13, 0
	s_and_b32 vcc_lo, exec_lo, s20
	s_cbranch_vccnz .LBB0_10
; %bb.9:                                ;   in Loop: Header=BB0_4 Depth=1
	s_mov_b64 s[20:21], s[44:45]
	s_branch .LBB0_4
.LBB0_10:
	v_cmp_lt_u64_e64 s12, s[26:27], s[28:29]
	s_mov_b64 s[20:21], 0
	s_delay_alu instid0(VALU_DEP_1)
	s_and_b32 vcc_lo, exec_lo, s12
	s_cbranch_vccnz .LBB0_12
; %bb.11:
	v_cvt_f32_u32_e32 v1, s28
	s_sub_i32 s13, 0, s28
	s_delay_alu instid0(VALU_DEP_1) | instskip(SKIP_2) | instid1(VALU_DEP_1)
	v_rcp_iflag_f32_e32 v1, v1
	s_waitcnt_depctr 0xfff
	v_mul_f32_e32 v1, 0x4f7ffffe, v1
	v_cvt_u32_f32_e32 v1, v1
	s_delay_alu instid0(VALU_DEP_1) | instskip(NEXT) | instid1(VALU_DEP_1)
	v_readfirstlane_b32 s12, v1
	s_mul_i32 s13, s13, s12
	s_delay_alu instid0(SALU_CYCLE_1) | instskip(NEXT) | instid1(SALU_CYCLE_1)
	s_mul_hi_u32 s13, s12, s13
	s_add_i32 s12, s12, s13
	s_delay_alu instid0(SALU_CYCLE_1) | instskip(NEXT) | instid1(SALU_CYCLE_1)
	s_mul_hi_u32 s12, s26, s12
	s_mul_i32 s13, s12, s28
	s_add_i32 s20, s12, 1
	s_sub_i32 s13, s26, s13
	s_delay_alu instid0(SALU_CYCLE_1)
	s_sub_i32 s21, s13, s28
	s_cmp_ge_u32 s13, s28
	s_cselect_b32 s12, s20, s12
	s_cselect_b32 s13, s21, s13
	s_add_i32 s20, s12, 1
	s_cmp_ge_u32 s13, s28
	s_cselect_b32 s20, s20, s12
.LBB0_12:
	v_mul_u32_u24_e32 v1, 0x1c72, v0
	s_lshl_b64 s[12:13], s[30:31], 3
                                        ; kill: def $vgpr4 killed $sgpr0 killed $exec
	s_delay_alu instid0(SALU_CYCLE_1) | instskip(SKIP_1) | instid1(VALU_DEP_1)
	s_add_u32 s14, s14, s12
	s_addc_u32 s15, s15, s13
	v_lshrrev_b32_e32 v15, 16, v1
	s_load_b64 s[14:15], s[14:15], 0x0
	s_delay_alu instid0(VALU_DEP_1) | instskip(NEXT) | instid1(VALU_DEP_1)
	v_mul_lo_u16 v1, v15, 9
	v_sub_nc_u16 v1, v0, v1
	s_delay_alu instid0(VALU_DEP_1) | instskip(NEXT) | instid1(VALU_DEP_1)
	v_and_b32_e32 v14, 0xffff, v1
	v_mad_u64_u32 v[5:6], null, s10, v14, 0
	s_waitcnt lgkmcnt(0)
	s_mul_i32 s14, s14, s20
	s_delay_alu instid0(VALU_DEP_1) | instskip(SKIP_1) | instid1(VALU_DEP_1)
	v_mov_b32_e32 v3, v6
	v_add_co_u32 v1, s10, s33, v14
	v_add_co_ci_u32_e64 v2, null, s9, 0, s10
	s_add_u32 s10, s14, s46
	s_add_u32 s12, s24, s12
	s_addc_u32 s13, s25, s13
	s_add_u32 s14, s33, 9
	s_addc_u32 s15, s9, 0
	v_cmp_gt_u64_e32 vcc_lo, s[22:23], v[1:2]
	v_cmp_le_u64_e64 s9, s[14:15], s[22:23]
	v_mad_u64_u32 v[6:7], null, s11, v14, v[3:4]
	v_dual_mov_b32 v4, 0 :: v_dual_mov_b32 v1, 0
	v_mov_b32_e32 v2, 0
	s_delay_alu instid0(VALU_DEP_4) | instskip(NEXT) | instid1(SALU_CYCLE_1)
	s_or_b32 s9, s9, vcc_lo
	s_and_saveexec_b32 s11, s9
	s_cbranch_execz .LBB0_14
; %bb.13:
	v_mul_lo_u32 v1, s8, v15
	v_mov_b32_e32 v2, 0
	s_delay_alu instid0(VALU_DEP_2) | instskip(NEXT) | instid1(VALU_DEP_1)
	v_add3_u32 v1, s10, v5, v1
	v_lshlrev_b64 v[1:2], 3, v[1:2]
	s_delay_alu instid0(VALU_DEP_1) | instskip(NEXT) | instid1(VALU_DEP_2)
	v_add_co_u32 v1, vcc_lo, s0, v1
	v_add_co_ci_u32_e32 v2, vcc_lo, s1, v2, vcc_lo
	global_load_b64 v[1:2], v[1:2], off
.LBB0_14:
	s_or_b32 exec_lo, exec_lo, s11
	v_mov_b32_e32 v3, 0
	s_and_saveexec_b32 s11, s9
	s_cbranch_execz .LBB0_16
; %bb.15:
	v_dual_mov_b32 v4, 0 :: v_dual_add_nc_u32 v3, 36, v15
	s_delay_alu instid0(VALU_DEP_1) | instskip(NEXT) | instid1(VALU_DEP_1)
	v_mul_lo_u32 v3, s8, v3
	v_add3_u32 v3, s10, v5, v3
	s_delay_alu instid0(VALU_DEP_1) | instskip(NEXT) | instid1(VALU_DEP_1)
	v_lshlrev_b64 v[3:4], 3, v[3:4]
	v_add_co_u32 v3, vcc_lo, s0, v3
	s_delay_alu instid0(VALU_DEP_2)
	v_add_co_ci_u32_e32 v4, vcc_lo, s1, v4, vcc_lo
	global_load_b64 v[3:4], v[3:4], off
.LBB0_16:
	s_or_b32 exec_lo, exec_lo, s11
	v_dual_mov_b32 v7, 0 :: v_dual_mov_b32 v8, 0
	v_mov_b32_e32 v9, 0
	s_and_saveexec_b32 s11, s9
	s_cbranch_execz .LBB0_18
; %bb.17:
	v_dual_mov_b32 v9, 0 :: v_dual_add_nc_u32 v6, 0x48, v15
	s_delay_alu instid0(VALU_DEP_1) | instskip(NEXT) | instid1(VALU_DEP_1)
	v_mul_lo_u32 v6, s8, v6
	v_add3_u32 v8, s10, v5, v6
	s_delay_alu instid0(VALU_DEP_1) | instskip(NEXT) | instid1(VALU_DEP_1)
	v_lshlrev_b64 v[8:9], 3, v[8:9]
	v_add_co_u32 v8, vcc_lo, s0, v8
	s_delay_alu instid0(VALU_DEP_2)
	v_add_co_ci_u32_e32 v9, vcc_lo, s1, v9, vcc_lo
	global_load_b64 v[8:9], v[8:9], off
.LBB0_18:
	s_or_b32 exec_lo, exec_lo, s11
	v_mov_b32_e32 v6, 0
	s_and_saveexec_b32 s11, s9
	s_cbranch_execz .LBB0_20
; %bb.19:
	v_dual_mov_b32 v7, 0 :: v_dual_add_nc_u32 v6, 0x6c, v15
	s_delay_alu instid0(VALU_DEP_1) | instskip(NEXT) | instid1(VALU_DEP_1)
	v_mul_lo_u32 v6, s8, v6
	v_add3_u32 v6, s10, v5, v6
	s_delay_alu instid0(VALU_DEP_1) | instskip(NEXT) | instid1(VALU_DEP_1)
	v_lshlrev_b64 v[6:7], 3, v[6:7]
	v_add_co_u32 v6, vcc_lo, s0, v6
	s_delay_alu instid0(VALU_DEP_2)
	v_add_co_ci_u32_e32 v7, vcc_lo, s1, v7, vcc_lo
	global_load_b64 v[6:7], v[6:7], off
.LBB0_20:
	s_or_b32 exec_lo, exec_lo, s11
	v_dual_mov_b32 v11, 0 :: v_dual_mov_b32 v12, 0
	v_mov_b32_e32 v13, 0
	s_and_saveexec_b32 s11, s9
	s_cbranch_execz .LBB0_22
; %bb.21:
	v_dual_mov_b32 v13, 0 :: v_dual_add_nc_u32 v10, 0x90, v15
	s_delay_alu instid0(VALU_DEP_1) | instskip(NEXT) | instid1(VALU_DEP_1)
	v_mul_lo_u32 v10, s8, v10
	v_add3_u32 v12, s10, v5, v10
	s_delay_alu instid0(VALU_DEP_1) | instskip(NEXT) | instid1(VALU_DEP_1)
	v_lshlrev_b64 v[12:13], 3, v[12:13]
	v_add_co_u32 v12, vcc_lo, s0, v12
	s_delay_alu instid0(VALU_DEP_2)
	v_add_co_ci_u32_e32 v13, vcc_lo, s1, v13, vcc_lo
	global_load_b64 v[12:13], v[12:13], off
.LBB0_22:
	s_or_b32 exec_lo, exec_lo, s11
	v_mov_b32_e32 v10, 0
	s_and_saveexec_b32 s11, s9
	s_cbranch_execz .LBB0_24
; %bb.23:
	v_dual_mov_b32 v11, 0 :: v_dual_add_nc_u32 v10, 0xb4, v15
	s_delay_alu instid0(VALU_DEP_1) | instskip(NEXT) | instid1(VALU_DEP_1)
	v_mul_lo_u32 v10, s8, v10
	v_add3_u32 v10, s10, v5, v10
	s_delay_alu instid0(VALU_DEP_1) | instskip(NEXT) | instid1(VALU_DEP_1)
	v_lshlrev_b64 v[10:11], 3, v[10:11]
	v_add_co_u32 v10, vcc_lo, s0, v10
	s_delay_alu instid0(VALU_DEP_2)
	v_add_co_ci_u32_e32 v11, vcc_lo, s1, v11, vcc_lo
	global_load_b64 v[10:11], v[10:11], off
.LBB0_24:
	s_or_b32 exec_lo, exec_lo, s11
	s_waitcnt vmcnt(0)
	v_dual_add_f32 v5, v8, v12 :: v_dual_add_f32 v18, v9, v13
	v_add_f32_e32 v16, v1, v8
	v_dual_sub_f32 v17, v9, v13 :: v_dual_sub_f32 v8, v8, v12
	s_delay_alu instid0(VALU_DEP_3) | instskip(NEXT) | instid1(VALU_DEP_4)
	v_fmac_f32_e32 v1, -0.5, v5
	v_dual_add_f32 v5, v2, v9 :: v_dual_fmac_f32 v2, -0.5, v18
	s_delay_alu instid0(VALU_DEP_4) | instskip(SKIP_1) | instid1(VALU_DEP_4)
	v_add_f32_e32 v9, v16, v12
	v_mul_u32_u24_e32 v24, 0x1b0, v15
	v_fmamk_f32 v12, v17, 0x3f5db3d7, v1
	v_dual_fmac_f32 v1, 0xbf5db3d7, v17 :: v_dual_add_f32 v16, v6, v10
	v_dual_add_f32 v13, v5, v13 :: v_dual_add_f32 v18, v7, v11
	v_fmamk_f32 v17, v8, 0xbf5db3d7, v2
	v_dual_add_f32 v5, v3, v6 :: v_dual_fmac_f32 v2, 0x3f5db3d7, v8
	s_delay_alu instid0(VALU_DEP_4) | instskip(SKIP_2) | instid1(VALU_DEP_4)
	v_dual_fmac_f32 v3, -0.5, v16 :: v_dual_sub_f32 v16, v7, v11
	v_dual_add_f32 v7, v4, v7 :: v_dual_sub_f32 v6, v6, v10
	v_fmac_f32_e32 v4, -0.5, v18
	v_add_f32_e32 v10, v5, v10
	s_delay_alu instid0(VALU_DEP_4) | instskip(NEXT) | instid1(VALU_DEP_4)
	v_fmamk_f32 v8, v16, 0x3f5db3d7, v3
	v_dual_fmac_f32 v3, 0xbf5db3d7, v16 :: v_dual_add_f32 v16, v7, v11
	s_delay_alu instid0(VALU_DEP_4) | instskip(SKIP_1) | instid1(VALU_DEP_4)
	v_fmamk_f32 v11, v6, 0xbf5db3d7, v4
	v_fmac_f32_e32 v4, 0x3f5db3d7, v6
	v_dual_add_f32 v5, v9, v10 :: v_dual_mul_f32 v18, 0.5, v8
	s_delay_alu instid0(VALU_DEP_4) | instskip(SKIP_1) | instid1(VALU_DEP_4)
	v_mul_f32_e32 v19, -0.5, v3
	v_mul_lo_u16 v6, v15, 43
	v_mul_f32_e32 v21, -0.5, v4
	s_load_b64 s[0:1], s[12:13], 0x0
	v_fmac_f32_e32 v18, 0x3f5db3d7, v11
	v_mul_f32_e32 v20, 0xbf5db3d7, v8
	v_lshrrev_b16 v22, 8, v6
	v_dual_fmac_f32 v21, 0xbf5db3d7, v3 :: v_dual_add_f32 v6, v13, v16
	s_delay_alu instid0(VALU_DEP_4) | instskip(NEXT) | instid1(VALU_DEP_4)
	v_add_f32_e32 v7, v12, v18
	v_dual_fmac_f32 v19, 0x3f5db3d7, v4 :: v_dual_fmac_f32 v20, 0.5, v11
	s_delay_alu instid0(VALU_DEP_4) | instskip(NEXT) | instid1(VALU_DEP_4)
	v_mul_lo_u16 v11, v22, 6
	v_dual_add_f32 v4, v2, v21 :: v_dual_sub_f32 v9, v9, v10
	s_delay_alu instid0(VALU_DEP_3) | instskip(NEXT) | instid1(VALU_DEP_4)
	v_add_f32_e32 v3, v1, v19
	v_dual_add_f32 v8, v17, v20 :: v_dual_lshlrev_b32 v25, 3, v14
	s_delay_alu instid0(VALU_DEP_4) | instskip(SKIP_3) | instid1(VALU_DEP_4)
	v_sub_nc_u16 v23, v15, v11
	v_sub_f32_e32 v11, v12, v18
	v_dual_sub_f32 v1, v1, v19 :: v_dual_sub_f32 v2, v2, v21
	v_dual_sub_f32 v10, v13, v16 :: v_dual_and_b32 v19, 0xffff, v22
	v_and_b32_e32 v18, 0xff, v23
	v_add3_u32 v13, 0, v24, v25
	ds_store_2addr_b64 v13, v[5:6], v[7:8] offset1:9
	ds_store_2addr_b64 v13, v[3:4], v[9:10] offset0:18 offset1:27
	v_mad_u32_u24 v24, v19, 36, v18
	v_mul_u32_u24_e32 v16, 5, v18
	s_delay_alu instid0(VALU_DEP_2) | instskip(NEXT) | instid1(VALU_DEP_2)
	v_mul_u32_u24_e32 v24, 0x48, v24
	v_lshlrev_b32_e32 v10, 3, v16
	s_delay_alu instid0(VALU_DEP_2) | instskip(NEXT) | instid1(VALU_DEP_1)
	v_add3_u32 v26, 0, v24, v25
	v_dual_sub_f32 v12, v17, v20 :: v_dual_add_nc_u32 v27, 0x400, v26
	ds_store_2addr_b64 v13, v[11:12], v[1:2] offset0:36 offset1:45
	s_waitcnt lgkmcnt(0)
	s_barrier
	buffer_gl0_inv
	s_clause 0x2
	global_load_b128 v[2:5], v10, s[18:19]
	global_load_b128 v[6:9], v10, s[18:19] offset:16
	global_load_b64 v[10:11], v10, s[18:19] offset:32
	v_mad_i32_i24 v1, 0xfffffe98, v15, v13
	ds_load_b64 v[12:13], v1 offset:2592
	ds_load_b64 v[16:17], v1 offset:5184
	;; [unrolled: 1-line block ×5, first 2 shown]
	ds_load_b64 v[24:25], v1
	s_waitcnt vmcnt(0) lgkmcnt(0)
	s_barrier
	buffer_gl0_inv
	v_mul_f32_e32 v28, v3, v13
	v_mul_f32_e32 v29, v3, v12
	;; [unrolled: 1-line block ×3, first 2 shown]
	v_dual_mul_f32 v5, v5, v16 :: v_dual_mul_f32 v30, v7, v19
	v_mul_f32_e32 v31, v9, v21
	v_dual_mul_f32 v9, v9, v20 :: v_dual_mul_f32 v32, v11, v23
	v_fma_f32 v12, v2, v12, -v28
	v_fmac_f32_e32 v29, v2, v13
	v_fma_f32 v2, v4, v16, -v3
	v_fmac_f32_e32 v5, v4, v17
	v_mul_f32_e32 v11, v11, v22
	v_fma_f32 v4, v8, v20, -v31
	v_mul_f32_e32 v7, v7, v18
	v_fma_f32 v3, v6, v18, -v30
	v_fmac_f32_e32 v9, v8, v21
	v_add_f32_e32 v8, v24, v2
	s_delay_alu instid0(VALU_DEP_4)
	v_dual_add_f32 v16, v25, v5 :: v_dual_fmac_f32 v7, v6, v19
	v_fma_f32 v6, v10, v22, -v32
	v_fmac_f32_e32 v11, v10, v23
	v_add_f32_e32 v10, v2, v4
	v_sub_f32_e32 v2, v2, v4
	v_add_f32_e32 v4, v8, v4
	v_add_f32_e32 v18, v3, v6
	;; [unrolled: 1-line block ×4, first 2 shown]
	v_sub_f32_e32 v13, v5, v9
	v_add_f32_e32 v5, v5, v9
	v_fma_f32 v21, -0.5, v10, v24
	v_dual_add_f32 v17, v12, v3 :: v_dual_fmac_f32 v12, -0.5, v18
	s_delay_alu instid0(VALU_DEP_3) | instskip(NEXT) | instid1(VALU_DEP_3)
	v_fmac_f32_e32 v25, -0.5, v5
	v_fmamk_f32 v10, v13, 0x3f5db3d7, v21
	s_delay_alu instid0(VALU_DEP_3)
	v_add_f32_e32 v5, v17, v6
	v_sub_f32_e32 v19, v7, v11
	v_add_f32_e32 v7, v7, v11
	v_dual_sub_f32 v3, v3, v6 :: v_dual_add_f32 v6, v20, v11
	v_fmac_f32_e32 v21, 0xbf5db3d7, v13
	v_fmamk_f32 v11, v2, 0xbf5db3d7, v25
	s_delay_alu instid0(VALU_DEP_4) | instskip(SKIP_2) | instid1(VALU_DEP_3)
	v_fmac_f32_e32 v29, -0.5, v7
	v_dual_fmac_f32 v25, 0x3f5db3d7, v2 :: v_dual_add_f32 v2, v4, v5
	v_fmamk_f32 v7, v19, 0x3f5db3d7, v12
	v_dual_fmac_f32 v12, 0xbf5db3d7, v19 :: v_dual_fmamk_f32 v9, v3, 0xbf5db3d7, v29
	v_fmac_f32_e32 v29, 0x3f5db3d7, v3
	s_delay_alu instid0(VALU_DEP_2) | instskip(NEXT) | instid1(VALU_DEP_3)
	v_dual_add_f32 v3, v8, v6 :: v_dual_mul_f32 v16, -0.5, v12
	v_mul_f32_e32 v13, 0x3f5db3d7, v9
	s_delay_alu instid0(VALU_DEP_3) | instskip(SKIP_1) | instid1(VALU_DEP_4)
	v_mul_f32_e32 v18, -0.5, v29
	v_sub_f32_e32 v4, v4, v5
	v_dual_sub_f32 v5, v8, v6 :: v_dual_fmac_f32 v16, 0x3f5db3d7, v29
	s_delay_alu instid0(VALU_DEP_3) | instskip(NEXT) | instid1(VALU_DEP_2)
	v_dual_fmac_f32 v13, 0.5, v7 :: v_dual_fmac_f32 v18, 0xbf5db3d7, v12
	v_sub_f32_e32 v12, v21, v16
	s_delay_alu instid0(VALU_DEP_2) | instskip(SKIP_3) | instid1(VALU_DEP_4)
	v_dual_add_f32 v6, v10, v13 :: v_dual_mul_f32 v17, 0xbf5db3d7, v7
	v_sub_f32_e32 v10, v10, v13
	v_add_f32_e32 v8, v21, v16
	v_sub_f32_e32 v13, v25, v18
	v_fmac_f32_e32 v17, 0.5, v9
	v_add_f32_e32 v9, v25, v18
	s_delay_alu instid0(VALU_DEP_2)
	v_add_f32_e32 v7, v11, v17
	v_sub_f32_e32 v11, v11, v17
	ds_store_2addr_b64 v26, v[2:3], v[6:7] offset1:54
	ds_store_2addr_b64 v26, v[8:9], v[4:5] offset0:108 offset1:162
	ds_store_2addr_b64 v27, v[10:11], v[12:13] offset0:88 offset1:142
	s_waitcnt lgkmcnt(0)
	s_barrier
	buffer_gl0_inv
	s_and_saveexec_b32 s8, s9
	s_cbranch_execz .LBB0_26
; %bb.25:
	v_mul_lo_u16 v2, v15, 29
	v_and_b32_e32 v23, 0xffff, v0
	s_mul_i32 s1, s1, s20
	s_mul_hi_u32 s8, s0, s20
	s_mul_i32 s0, s0, s20
	v_lshrrev_b16 v2, 10, v2
	v_mul_u32_u24_e32 v25, 0x195, v23
	v_mad_u64_u32 v[23:24], null, s6, v14, 0
	s_add_i32 s1, s8, s1
	s_delay_alu instid0(VALU_DEP_3) | instskip(NEXT) | instid1(VALU_DEP_3)
	v_mul_lo_u16 v2, v2, 36
	v_lshrrev_b32_e32 v25, 17, v25
	s_lshl_b64 s[0:1], s[0:1], 3
	s_delay_alu instid0(SALU_CYCLE_1) | instskip(NEXT) | instid1(VALU_DEP_2)
	s_add_u32 s2, s2, s0
	v_sub_nc_u16 v2, v15, v2
	s_delay_alu instid0(VALU_DEP_2) | instskip(SKIP_2) | instid1(VALU_DEP_3)
	v_mul_lo_u16 v28, 0xd8, v25
	v_mad_u64_u32 v[25:26], null, s7, v14, v[24:25]
	s_addc_u32 s3, s3, s1
	v_and_b32_e32 v27, 0xff, v2
	s_lshl_b64 s[0:1], s[16:17], 3
	s_delay_alu instid0(SALU_CYCLE_1) | instskip(SKIP_1) | instid1(VALU_DEP_2)
	s_add_u32 s0, s2, s0
	s_addc_u32 s1, s3, s1
	v_mov_b32_e32 v24, v25
	v_mul_u32_u24_e32 v2, 5, v27
	s_delay_alu instid0(VALU_DEP_2) | instskip(NEXT) | instid1(VALU_DEP_2)
	v_lshlrev_b64 v[23:24], 3, v[23:24]
	v_lshlrev_b32_e32 v10, 3, v2
	s_clause 0x2
	global_load_b128 v[2:5], v10, s[18:19] offset:240
	global_load_b128 v[6:9], v10, s[18:19] offset:256
	global_load_b64 v[10:11], v10, s[18:19] offset:272
	ds_load_b64 v[12:13], v1
	ds_load_b64 v[15:16], v1 offset:7776
	ds_load_b64 v[17:18], v1 offset:5184
	;; [unrolled: 1-line block ×5, first 2 shown]
	v_and_b32_e32 v14, 0xffff, v28
	s_delay_alu instid0(VALU_DEP_1) | instskip(NEXT) | instid1(VALU_DEP_1)
	v_add_nc_u32_e32 v39, v27, v14
	v_mad_u64_u32 v[25:26], null, s4, v39, 0
	v_add_nc_u32_e32 v40, 36, v39
	s_delay_alu instid0(VALU_DEP_1) | instskip(NEXT) | instid1(VALU_DEP_3)
	v_mad_u64_u32 v[27:28], null, s4, v40, 0
	v_mov_b32_e32 v14, v26
	s_waitcnt lgkmcnt(4)
	s_delay_alu instid0(VALU_DEP_1) | instskip(NEXT) | instid1(VALU_DEP_3)
	v_mad_u64_u32 v[37:38], null, s5, v39, v[14:15]
	v_dual_mov_b32 v14, v28 :: v_dual_add_nc_u32 v41, 0x48, v39
	v_add_nc_u32_e32 v42, 0x6c, v39
	v_add_nc_u32_e32 v44, 0xb4, v39
	s_delay_alu instid0(VALU_DEP_3) | instskip(NEXT) | instid1(VALU_DEP_3)
	v_mad_u64_u32 v[29:30], null, s4, v41, 0
	v_mad_u64_u32 v[31:32], null, s4, v42, 0
	v_add_nc_u32_e32 v43, 0x90, v39
	v_mad_u64_u32 v[38:39], null, s5, v40, v[14:15]
	v_add_co_u32 v14, vcc_lo, s0, v23
	v_mov_b32_e32 v26, v30
	v_mov_b32_e32 v28, v32
	v_mad_u64_u32 v[33:34], null, s4, v43, 0
	s_delay_alu instid0(VALU_DEP_3) | instskip(NEXT) | instid1(VALU_DEP_3)
	v_mad_u64_u32 v[39:40], null, s5, v41, v[26:27]
	v_mad_u64_u32 v[40:41], null, s5, v42, v[28:29]
	v_mov_b32_e32 v28, v38
	s_delay_alu instid0(VALU_DEP_4) | instskip(SKIP_2) | instid1(VALU_DEP_3)
	v_mov_b32_e32 v30, v34
	v_mov_b32_e32 v26, v37
	v_add_co_ci_u32_e32 v37, vcc_lo, s1, v24, vcc_lo
	v_mad_u64_u32 v[41:42], null, s5, v43, v[30:31]
	s_delay_alu instid0(VALU_DEP_3) | instskip(SKIP_2) | instid1(VALU_DEP_2)
	v_lshlrev_b64 v[23:24], 3, v[25:26]
	v_mov_b32_e32 v30, v39
	v_lshlrev_b64 v[25:26], 3, v[27:28]
	v_lshlrev_b64 v[27:28], 3, v[29:30]
	s_delay_alu instid0(VALU_DEP_4)
	v_add_co_u32 v23, vcc_lo, v14, v23
	v_mov_b32_e32 v34, v41
	v_add_co_ci_u32_e32 v24, vcc_lo, v37, v24, vcc_lo
	v_add_co_u32 v25, vcc_lo, v14, v25
	v_add_co_ci_u32_e32 v26, vcc_lo, v37, v26, vcc_lo
	v_add_co_u32 v27, vcc_lo, v14, v27
	v_add_co_ci_u32_e32 v28, vcc_lo, v37, v28, vcc_lo
	s_waitcnt vmcnt(0) lgkmcnt(0)
	v_mul_f32_e32 v38, v11, v1
	v_mul_f32_e32 v11, v11, v0
	v_mad_u64_u32 v[35:36], null, s4, v44, 0
	s_delay_alu instid0(VALU_DEP_3) | instskip(NEXT) | instid1(VALU_DEP_2)
	v_fma_f32 v0, v10, v0, -v38
	v_dual_fmac_f32 v11, v10, v1 :: v_dual_mov_b32 v32, v36
	s_delay_alu instid0(VALU_DEP_1) | instskip(SKIP_1) | instid1(VALU_DEP_1)
	v_mad_u64_u32 v[42:43], null, s5, v44, v[32:33]
	v_mov_b32_e32 v32, v40
	v_lshlrev_b64 v[29:30], 3, v[31:32]
	s_delay_alu instid0(VALU_DEP_3) | instskip(SKIP_1) | instid1(VALU_DEP_2)
	v_mov_b32_e32 v36, v42
	v_lshlrev_b64 v[31:32], 3, v[33:34]
	v_lshlrev_b64 v[33:34], 3, v[35:36]
	s_delay_alu instid0(VALU_DEP_4) | instskip(SKIP_1) | instid1(VALU_DEP_4)
	v_add_co_u32 v29, vcc_lo, v14, v29
	v_add_co_ci_u32_e32 v30, vcc_lo, v37, v30, vcc_lo
	v_add_co_u32 v31, vcc_lo, v14, v31
	v_add_co_ci_u32_e32 v32, vcc_lo, v37, v32, vcc_lo
	;; [unrolled: 2-line block ×3, first 2 shown]
	v_mul_f32_e32 v36, v3, v20
	v_mul_f32_e32 v37, v7, v16
	;; [unrolled: 1-line block ×6, first 2 shown]
	s_delay_alu instid0(VALU_DEP_4) | instskip(NEXT) | instid1(VALU_DEP_4)
	v_fmac_f32_e32 v7, v6, v16
	v_dual_fmac_f32 v3, v2, v20 :: v_dual_mul_f32 v14, v5, v18
	v_mul_f32_e32 v5, v5, v17
	s_delay_alu instid0(VALU_DEP_3) | instskip(NEXT) | instid1(VALU_DEP_2)
	v_dual_fmac_f32 v9, v8, v22 :: v_dual_add_f32 v16, v7, v11
	v_dual_fmac_f32 v5, v4, v18 :: v_dual_sub_f32 v10, v7, v11
	s_delay_alu instid0(VALU_DEP_4) | instskip(SKIP_3) | instid1(VALU_DEP_2)
	v_add_f32_e32 v7, v3, v7
	v_fma_f32 v14, v4, v17, -v14
	v_fma_f32 v17, v8, v21, -v35
	;; [unrolled: 1-line block ×3, first 2 shown]
	v_sub_f32_e32 v1, v14, v17
	v_fma_f32 v4, v2, v19, -v36
	v_add_f32_e32 v2, v5, v9
	s_delay_alu instid0(VALU_DEP_4) | instskip(SKIP_1) | instid1(VALU_DEP_4)
	v_dual_add_f32 v6, v8, v0 :: v_dual_add_f32 v19, v14, v17
	v_sub_f32_e32 v15, v8, v0
	v_add_f32_e32 v8, v4, v8
	s_delay_alu instid0(VALU_DEP_3)
	v_fma_f32 v4, -0.5, v6, v4
	v_fma_f32 v6, -0.5, v16, v3
	v_dual_add_f32 v3, v7, v11 :: v_dual_add_f32 v18, v13, v5
	v_fma_f32 v13, -0.5, v2, v13
	v_dual_add_f32 v14, v12, v14 :: v_dual_sub_f32 v5, v5, v9
	v_fma_f32 v11, -0.5, v19, v12
	s_delay_alu instid0(VALU_DEP_3) | instskip(SKIP_1) | instid1(VALU_DEP_4)
	v_dual_add_f32 v2, v18, v9 :: v_dual_fmamk_f32 v9, v1, 0x3f5db3d7, v13
	v_fmac_f32_e32 v13, 0xbf5db3d7, v1
	v_dual_add_f32 v7, v14, v17 :: v_dual_fmamk_f32 v14, v15, 0x3f5db3d7, v6
	v_fmac_f32_e32 v6, 0xbf5db3d7, v15
	s_delay_alu instid0(VALU_DEP_1)
	v_mul_f32_e32 v15, 0x3f5db3d7, v6
	v_fmamk_f32 v12, v10, 0xbf5db3d7, v4
	v_fmac_f32_e32 v4, 0x3f5db3d7, v10
	v_fmamk_f32 v10, v5, 0xbf5db3d7, v11
	v_fmac_f32_e32 v11, 0x3f5db3d7, v5
	v_dual_mul_f32 v5, -0.5, v14 :: v_dual_add_f32 v8, v8, v0
	v_sub_f32_e32 v1, v2, v3
	v_add_f32_e32 v3, v2, v3
	v_fmac_f32_e32 v15, 0.5, v4
	s_delay_alu instid0(VALU_DEP_4)
	v_fmac_f32_e32 v5, 0xbf5db3d7, v12
	v_add_f32_e32 v2, v7, v8
	v_sub_f32_e32 v0, v7, v8
	v_mul_f32_e32 v16, -0.5, v12
	global_store_b64 v[23:24], v[2:3], off
	v_sub_f32_e32 v3, v9, v5
	v_dual_add_f32 v5, v9, v5 :: v_dual_mul_f32 v8, 0xbf5db3d7, v4
	s_delay_alu instid0(VALU_DEP_1) | instskip(SKIP_1) | instid1(VALU_DEP_2)
	v_fmac_f32_e32 v8, 0.5, v6
	v_fmac_f32_e32 v16, 0x3f5db3d7, v14
	v_dual_add_f32 v6, v11, v15 :: v_dual_sub_f32 v9, v13, v8
	v_add_f32_e32 v7, v13, v8
	s_delay_alu instid0(VALU_DEP_3)
	v_add_f32_e32 v4, v10, v16
	v_sub_f32_e32 v8, v11, v15
	v_sub_f32_e32 v2, v10, v16
	s_clause 0x4
	global_store_b64 v[25:26], v[6:7], off
	global_store_b64 v[27:28], v[4:5], off
	;; [unrolled: 1-line block ×5, first 2 shown]
.LBB0_26:
	s_nop 0
	s_sendmsg sendmsg(MSG_DEALLOC_VGPRS)
	s_endpgm
	.section	.rodata,"a",@progbits
	.p2align	6, 0x0
	.amdhsa_kernel fft_rtc_fwd_len216_factors_6_6_6_wgs_324_tpt_36_sp_op_CI_CI_sbcc_dirReg_intrinsicRead
		.amdhsa_group_segment_fixed_size 0
		.amdhsa_private_segment_fixed_size 0
		.amdhsa_kernarg_size 112
		.amdhsa_user_sgpr_count 15
		.amdhsa_user_sgpr_dispatch_ptr 0
		.amdhsa_user_sgpr_queue_ptr 0
		.amdhsa_user_sgpr_kernarg_segment_ptr 1
		.amdhsa_user_sgpr_dispatch_id 0
		.amdhsa_user_sgpr_private_segment_size 0
		.amdhsa_wavefront_size32 1
		.amdhsa_uses_dynamic_stack 0
		.amdhsa_enable_private_segment 0
		.amdhsa_system_sgpr_workgroup_id_x 1
		.amdhsa_system_sgpr_workgroup_id_y 0
		.amdhsa_system_sgpr_workgroup_id_z 0
		.amdhsa_system_sgpr_workgroup_info 0
		.amdhsa_system_vgpr_workitem_id 0
		.amdhsa_next_free_vgpr 45
		.amdhsa_next_free_sgpr 56
		.amdhsa_reserve_vcc 1
		.amdhsa_float_round_mode_32 0
		.amdhsa_float_round_mode_16_64 0
		.amdhsa_float_denorm_mode_32 3
		.amdhsa_float_denorm_mode_16_64 3
		.amdhsa_dx10_clamp 1
		.amdhsa_ieee_mode 1
		.amdhsa_fp16_overflow 0
		.amdhsa_workgroup_processor_mode 1
		.amdhsa_memory_ordered 1
		.amdhsa_forward_progress 0
		.amdhsa_shared_vgpr_count 0
		.amdhsa_exception_fp_ieee_invalid_op 0
		.amdhsa_exception_fp_denorm_src 0
		.amdhsa_exception_fp_ieee_div_zero 0
		.amdhsa_exception_fp_ieee_overflow 0
		.amdhsa_exception_fp_ieee_underflow 0
		.amdhsa_exception_fp_ieee_inexact 0
		.amdhsa_exception_int_div_zero 0
	.end_amdhsa_kernel
	.text
.Lfunc_end0:
	.size	fft_rtc_fwd_len216_factors_6_6_6_wgs_324_tpt_36_sp_op_CI_CI_sbcc_dirReg_intrinsicRead, .Lfunc_end0-fft_rtc_fwd_len216_factors_6_6_6_wgs_324_tpt_36_sp_op_CI_CI_sbcc_dirReg_intrinsicRead
                                        ; -- End function
	.section	.AMDGPU.csdata,"",@progbits
; Kernel info:
; codeLenInByte = 4460
; NumSgprs: 58
; NumVgprs: 45
; ScratchSize: 0
; MemoryBound: 0
; FloatMode: 240
; IeeeMode: 1
; LDSByteSize: 0 bytes/workgroup (compile time only)
; SGPRBlocks: 7
; VGPRBlocks: 5
; NumSGPRsForWavesPerEU: 58
; NumVGPRsForWavesPerEU: 45
; Occupancy: 14
; WaveLimiterHint : 1
; COMPUTE_PGM_RSRC2:SCRATCH_EN: 0
; COMPUTE_PGM_RSRC2:USER_SGPR: 15
; COMPUTE_PGM_RSRC2:TRAP_HANDLER: 0
; COMPUTE_PGM_RSRC2:TGID_X_EN: 1
; COMPUTE_PGM_RSRC2:TGID_Y_EN: 0
; COMPUTE_PGM_RSRC2:TGID_Z_EN: 0
; COMPUTE_PGM_RSRC2:TIDIG_COMP_CNT: 0
	.text
	.p2alignl 7, 3214868480
	.fill 96, 4, 3214868480
	.type	__hip_cuid_f3ab939643753b57,@object ; @__hip_cuid_f3ab939643753b57
	.section	.bss,"aw",@nobits
	.globl	__hip_cuid_f3ab939643753b57
__hip_cuid_f3ab939643753b57:
	.byte	0                               ; 0x0
	.size	__hip_cuid_f3ab939643753b57, 1

	.ident	"AMD clang version 19.0.0git (https://github.com/RadeonOpenCompute/llvm-project roc-6.4.0 25133 c7fe45cf4b819c5991fe208aaa96edf142730f1d)"
	.section	".note.GNU-stack","",@progbits
	.addrsig
	.addrsig_sym __hip_cuid_f3ab939643753b57
	.amdgpu_metadata
---
amdhsa.kernels:
  - .args:
      - .actual_access:  read_only
        .address_space:  global
        .offset:         0
        .size:           8
        .value_kind:     global_buffer
      - .address_space:  global
        .offset:         8
        .size:           8
        .value_kind:     global_buffer
      - .offset:         16
        .size:           8
        .value_kind:     by_value
      - .actual_access:  read_only
        .address_space:  global
        .offset:         24
        .size:           8
        .value_kind:     global_buffer
      - .actual_access:  read_only
        .address_space:  global
        .offset:         32
        .size:           8
        .value_kind:     global_buffer
      - .actual_access:  read_only
        .address_space:  global
        .offset:         40
        .size:           8
        .value_kind:     global_buffer
      - .offset:         48
        .size:           8
        .value_kind:     by_value
      - .actual_access:  read_only
        .address_space:  global
        .offset:         56
        .size:           8
        .value_kind:     global_buffer
      - .actual_access:  read_only
        .address_space:  global
        .offset:         64
        .size:           8
        .value_kind:     global_buffer
      - .offset:         72
        .size:           4
        .value_kind:     by_value
      - .actual_access:  read_only
        .address_space:  global
        .offset:         80
        .size:           8
        .value_kind:     global_buffer
      - .actual_access:  read_only
        .address_space:  global
        .offset:         88
        .size:           8
        .value_kind:     global_buffer
      - .actual_access:  read_only
        .address_space:  global
        .offset:         96
        .size:           8
        .value_kind:     global_buffer
      - .actual_access:  write_only
        .address_space:  global
        .offset:         104
        .size:           8
        .value_kind:     global_buffer
    .group_segment_fixed_size: 0
    .kernarg_segment_align: 8
    .kernarg_segment_size: 112
    .language:       OpenCL C
    .language_version:
      - 2
      - 0
    .max_flat_workgroup_size: 324
    .name:           fft_rtc_fwd_len216_factors_6_6_6_wgs_324_tpt_36_sp_op_CI_CI_sbcc_dirReg_intrinsicRead
    .private_segment_fixed_size: 0
    .sgpr_count:     58
    .sgpr_spill_count: 0
    .symbol:         fft_rtc_fwd_len216_factors_6_6_6_wgs_324_tpt_36_sp_op_CI_CI_sbcc_dirReg_intrinsicRead.kd
    .uniform_work_group_size: 1
    .uses_dynamic_stack: false
    .vgpr_count:     45
    .vgpr_spill_count: 0
    .wavefront_size: 32
    .workgroup_processor_mode: 1
amdhsa.target:   amdgcn-amd-amdhsa--gfx1100
amdhsa.version:
  - 1
  - 2
...

	.end_amdgpu_metadata
